;; amdgpu-corpus repo=ROCm/rocm-examples kind=compiled arch=gfx90a opt=O3
	.text
	.amdgcn_target "amdgcn-amd-amdhsa--gfx90a"
	.amdhsa_code_object_version 6
	.section	.text._Z17sobol_init_kernelILj32EN14rocrand_device14sobol32_engineILb0EEEEvPT0_Pjj,"axG",@progbits,_Z17sobol_init_kernelILj32EN14rocrand_device14sobol32_engineILb0EEEEvPT0_Pjj,comdat
	.protected	_Z17sobol_init_kernelILj32EN14rocrand_device14sobol32_engineILb0EEEEvPT0_Pjj ; -- Begin function _Z17sobol_init_kernelILj32EN14rocrand_device14sobol32_engineILb0EEEEvPT0_Pjj
	.globl	_Z17sobol_init_kernelILj32EN14rocrand_device14sobol32_engineILb0EEEEvPT0_Pjj
	.p2align	8
	.type	_Z17sobol_init_kernelILj32EN14rocrand_device14sobol32_engineILb0EEEEvPT0_Pjj,@function
_Z17sobol_init_kernelILj32EN14rocrand_device14sobol32_engineILb0EEEEvPT0_Pjj: ; @_Z17sobol_init_kernelILj32EN14rocrand_device14sobol32_engineILb0EEEEvPT0_Pjj
; %bb.0:
	s_load_dwordx4 s[0:3], s[4:5], 0x0
	s_load_dword s8, s[4:5], 0x24
	s_load_dword s9, s[4:5], 0x10
	;; [unrolled: 1-line block ×3, first 2 shown]
	s_waitcnt lgkmcnt(0)
	v_mov_b32_e32 v4, s0
	v_mov_b32_e32 v5, s1
	s_lshl_b32 s0, s7, 5
	s_mov_b32 s1, 0
	s_and_b32 s4, s8, 0xffff
	s_lshl_b64 s[0:1], s[0:1], 2
	s_mul_i32 s6, s6, s4
	s_add_u32 s16, s2, s0
	v_add_u32_e32 v0, s6, v0
	s_addc_u32 s17, s3, s1
	s_mul_i32 s0, s10, s7
	v_add_u32_e32 v3, s9, v0
	s_mul_i32 s18, s0, s4
	s_load_dwordx16 s[0:15], s[16:17], 0x0
	v_lshrrev_b32_e32 v1, 1, v3
	v_xor_b32_e32 v1, v1, v3
	v_bfe_i32 v2, v1, 0, 1
	v_bfe_i32 v6, v1, 1, 1
	v_add_u32_e32 v0, s18, v0
	s_movk_i32 s18, 0x88
	v_bfe_i32 v7, v1, 2, 1
	v_bfe_i32 v8, v1, 3, 1
	;; [unrolled: 1-line block ×29, first 2 shown]
	v_mad_u64_u32 v[0:1], s[18:19], v0, s18, v[4:5]
	s_waitcnt lgkmcnt(0)
	v_and_b32_e32 v2, s0, v2
	v_and_b32_e32 v4, s1, v6
	v_xor_b32_e32 v2, v4, v2
	v_and_b32_e32 v4, s2, v7
	v_and_b32_e32 v5, s3, v8
	v_xor_b32_e32 v2, v2, v4
	v_xor_b32_e32 v2, v2, v5
	v_and_b32_e32 v4, s4, v9
	v_and_b32_e32 v5, s5, v10
	v_xor_b32_e32 v2, v2, v4
	;; [unrolled: 4-line block ×5, first 2 shown]
	s_load_dwordx16 s[16:31], s[16:17], 0x40
	v_xor_b32_e32 v2, v2, v5
	v_and_b32_e32 v4, s12, v17
	v_and_b32_e32 v5, s13, v18
	v_xor_b32_e32 v2, v2, v4
	v_xor_b32_e32 v2, v2, v5
	v_and_b32_e32 v4, s14, v19
	v_and_b32_e32 v5, s15, v20
	v_xor_b32_e32 v2, v2, v4
	v_xor_b32_e32 v2, v2, v5
	s_waitcnt lgkmcnt(0)
	v_and_b32_e32 v4, s16, v21
	v_and_b32_e32 v5, s17, v22
	v_xor_b32_e32 v2, v2, v4
	v_xor_b32_e32 v2, v2, v5
	v_and_b32_e32 v4, s18, v23
	v_and_b32_e32 v5, s19, v24
	v_xor_b32_e32 v2, v2, v4
	v_xor_b32_e32 v2, v2, v5
	;; [unrolled: 4-line block ×7, first 2 shown]
	v_and_b32_e32 v4, s30, v35
	v_ashrrev_i32_e32 v5, 31, v3
	v_and_b32_e32 v5, s31, v5
	v_xor_b32_e32 v2, v2, v4
	v_xor_b32_e32 v2, v2, v5
	v_mov_b32_e32 v4, s0
	v_mov_b32_e32 v5, s1
	global_store_dwordx4 v[0:1], v[2:5], off
	v_mov_b32_e32 v6, s30
	v_mov_b32_e32 v2, s2
	;; [unrolled: 1-line block ×5, first 2 shown]
	global_store_dwordx4 v[0:1], v[2:5], off offset:16
	v_mov_b32_e32 v7, s31
	v_mov_b32_e32 v2, s6
	;; [unrolled: 1-line block ×5, first 2 shown]
	global_store_dwordx4 v[0:1], v[2:5], off offset:32
	s_nop 0
	v_mov_b32_e32 v2, s10
	v_mov_b32_e32 v3, s11
	v_mov_b32_e32 v4, s12
	v_mov_b32_e32 v5, s13
	global_store_dwordx4 v[0:1], v[2:5], off offset:48
	s_nop 0
	v_mov_b32_e32 v2, s14
	v_mov_b32_e32 v3, s15
	v_mov_b32_e32 v4, s16
	v_mov_b32_e32 v5, s17
	;; [unrolled: 6-line block ×5, first 2 shown]
	global_store_dwordx4 v[0:1], v[2:5], off offset:112
	global_store_dwordx2 v[0:1], v[6:7], off offset:128
	s_endpgm
	.section	.rodata,"a",@progbits
	.p2align	6, 0x0
	.amdhsa_kernel _Z17sobol_init_kernelILj32EN14rocrand_device14sobol32_engineILb0EEEEvPT0_Pjj
		.amdhsa_group_segment_fixed_size 0
		.amdhsa_private_segment_fixed_size 0
		.amdhsa_kernarg_size 280
		.amdhsa_user_sgpr_count 6
		.amdhsa_user_sgpr_private_segment_buffer 1
		.amdhsa_user_sgpr_dispatch_ptr 0
		.amdhsa_user_sgpr_queue_ptr 0
		.amdhsa_user_sgpr_kernarg_segment_ptr 1
		.amdhsa_user_sgpr_dispatch_id 0
		.amdhsa_user_sgpr_flat_scratch_init 0
		.amdhsa_user_sgpr_kernarg_preload_length 0
		.amdhsa_user_sgpr_kernarg_preload_offset 0
		.amdhsa_user_sgpr_private_segment_size 0
		.amdhsa_uses_dynamic_stack 0
		.amdhsa_system_sgpr_private_segment_wavefront_offset 0
		.amdhsa_system_sgpr_workgroup_id_x 1
		.amdhsa_system_sgpr_workgroup_id_y 1
		.amdhsa_system_sgpr_workgroup_id_z 0
		.amdhsa_system_sgpr_workgroup_info 0
		.amdhsa_system_vgpr_workitem_id 0
		.amdhsa_next_free_vgpr 36
		.amdhsa_next_free_sgpr 32
		.amdhsa_accum_offset 36
		.amdhsa_reserve_vcc 0
		.amdhsa_reserve_flat_scratch 0
		.amdhsa_float_round_mode_32 0
		.amdhsa_float_round_mode_16_64 0
		.amdhsa_float_denorm_mode_32 3
		.amdhsa_float_denorm_mode_16_64 3
		.amdhsa_dx10_clamp 1
		.amdhsa_ieee_mode 1
		.amdhsa_fp16_overflow 0
		.amdhsa_tg_split 0
		.amdhsa_exception_fp_ieee_invalid_op 0
		.amdhsa_exception_fp_denorm_src 0
		.amdhsa_exception_fp_ieee_div_zero 0
		.amdhsa_exception_fp_ieee_overflow 0
		.amdhsa_exception_fp_ieee_underflow 0
		.amdhsa_exception_fp_ieee_inexact 0
		.amdhsa_exception_int_div_zero 0
	.end_amdhsa_kernel
	.section	.text._Z17sobol_init_kernelILj32EN14rocrand_device14sobol32_engineILb0EEEEvPT0_Pjj,"axG",@progbits,_Z17sobol_init_kernelILj32EN14rocrand_device14sobol32_engineILb0EEEEvPT0_Pjj,comdat
.Lfunc_end0:
	.size	_Z17sobol_init_kernelILj32EN14rocrand_device14sobol32_engineILb0EEEEvPT0_Pjj, .Lfunc_end0-_Z17sobol_init_kernelILj32EN14rocrand_device14sobol32_engineILb0EEEEvPT0_Pjj
                                        ; -- End function
	.section	.AMDGPU.csdata,"",@progbits
; Kernel info:
; codeLenInByte = 868
; NumSgprs: 36
; NumVgprs: 36
; NumAgprs: 0
; TotalNumVgprs: 36
; ScratchSize: 0
; MemoryBound: 0
; FloatMode: 240
; IeeeMode: 1
; LDSByteSize: 0 bytes/workgroup (compile time only)
; SGPRBlocks: 4
; VGPRBlocks: 4
; NumSGPRsForWavesPerEU: 36
; NumVGPRsForWavesPerEU: 36
; AccumOffset: 36
; Occupancy: 8
; WaveLimiterHint : 0
; COMPUTE_PGM_RSRC2:SCRATCH_EN: 0
; COMPUTE_PGM_RSRC2:USER_SGPR: 6
; COMPUTE_PGM_RSRC2:TRAP_HANDLER: 0
; COMPUTE_PGM_RSRC2:TGID_X_EN: 1
; COMPUTE_PGM_RSRC2:TGID_Y_EN: 1
; COMPUTE_PGM_RSRC2:TGID_Z_EN: 0
; COMPUTE_PGM_RSRC2:TIDIG_COMP_CNT: 0
; COMPUTE_PGM_RSRC3_GFX90A:ACCUM_OFFSET: 8
; COMPUTE_PGM_RSRC3_GFX90A:TG_SPLIT: 0
	.section	.text._Z15generate_kernelIN14rocrand_device14sobol32_engineILb0EEEEvPT_Pjm,"axG",@progbits,_Z15generate_kernelIN14rocrand_device14sobol32_engineILb0EEEEvPT_Pjm,comdat
	.protected	_Z15generate_kernelIN14rocrand_device14sobol32_engineILb0EEEEvPT_Pjm ; -- Begin function _Z15generate_kernelIN14rocrand_device14sobol32_engineILb0EEEEvPT_Pjm
	.globl	_Z15generate_kernelIN14rocrand_device14sobol32_engineILb0EEEEvPT_Pjm
	.p2align	8
	.type	_Z15generate_kernelIN14rocrand_device14sobol32_engineILb0EEEEvPT_Pjm,@function
_Z15generate_kernelIN14rocrand_device14sobol32_engineILb0EEEEvPT_Pjm: ; @_Z15generate_kernelIN14rocrand_device14sobol32_engineILb0EEEEvPT_Pjm
; %bb.0:
	s_load_dwordx4 s[0:3], s[4:5], 0x0
	s_load_dword s11, s[4:5], 0x24
	s_load_dword s10, s[4:5], 0x18
	s_load_dwordx2 s[8:9], s[4:5], 0x10
	v_mov_b32_e32 v39, 0
	s_waitcnt lgkmcnt(0)
	v_mov_b32_e32 v2, s0
	s_and_b32 s11, s11, 0xffff
	s_mul_i32 s0, s6, s11
	s_mul_i32 s4, s10, s11
	v_add_u32_e32 v38, s0, v0
	s_mul_i32 s0, s4, s7
	v_mov_b32_e32 v3, s1
	v_add_u32_e32 v1, s0, v38
	s_movk_i32 s0, 0x88
	v_mad_u64_u32 v[50:51], s[0:1], v1, s0, v[2:3]
	global_load_dwordx4 v[18:21], v[50:51], off offset:4
	global_load_dwordx4 v[26:29], v[50:51], off offset:20
	global_load_dwordx4 v[30:33], v[50:51], off offset:36
	global_load_dwordx3 v[46:48], v[50:51], off offset:52
	global_load_dwordx4 v[2:5], v[50:51], off offset:112
	global_load_dwordx4 v[6:9], v[50:51], off offset:96
	;; [unrolled: 1-line block ×4, first 2 shown]
	global_load_dwordx2 v[52:53], v[50:51], off offset:128
	v_cmp_gt_u64_e32 vcc, s[8:9], v[38:39]
	s_waitcnt vmcnt(8)
	v_mov_b32_e32 v40, v19
	v_mov_b32_e32 v41, v20
	v_mov_b32_e32 v34, v21
	s_waitcnt vmcnt(7)
	v_mov_b32_e32 v35, v26
	v_mov_b32_e32 v36, v27
	v_mov_b32_e32 v37, v28
	v_mov_b32_e32 v42, v29
	s_waitcnt vmcnt(6)
	v_mov_b32_e32 v43, v30
	;; [unrolled: 5-line block ×3, first 2 shown]
	v_mov_b32_e32 v24, v47
	v_mov_b32_e32 v25, v48
	s_and_saveexec_b64 s[0:1], vcc
	s_cbranch_execz .LBB1_4
; %bb.1:
	global_load_dword v22, v[50:51], off
	s_mul_i32 s5, s7, s9
	s_mul_hi_u32 s12, s7, s8
	s_add_i32 s13, s12, s5
	s_mul_i32 s12, s7, s8
	s_lshl_b64 s[12:13], s[12:13], 2
	s_add_u32 s5, s2, s12
	s_addc_u32 s7, s3, s13
	s_add_i32 s2, s6, s10
	s_mul_i32 s2, s2, s11
	v_add_u32_e32 v1, s4, v18
	v_add_u32_e32 v0, s2, v0
	s_mov_b32 s6, 0
	s_mov_b64 s[2:3], 0
	s_waitcnt vmcnt(0)
.LBB1_2:                                ; =>This Inner Loop Header: Depth=1
	v_lshlrev_b64 v[34:35], 2, v[38:39]
	v_mov_b32_e32 v18, s7
	v_add_u32_e32 v25, s6, v1
	v_add_co_u32_e32 v34, vcc, s5, v34
	v_addc_co_u32_e32 v35, vcc, v18, v35, vcc
	v_lshrrev_b32_e32 v18, 1, v25
	v_xor_b32_e32 v18, v18, v25
	v_ashrrev_i32_e32 v36, 31, v25
	global_store_dword v[34:35], v22, off
	v_bfe_i32 v25, v18, 0, 1
	v_bfe_i32 v34, v18, 1, 1
	v_bfe_i32 v35, v18, 2, 1
	v_and_b32_e32 v25, v25, v19
	v_and_b32_e32 v34, v34, v20
	;; [unrolled: 1-line block ×3, first 2 shown]
	v_bfe_i32 v36, v18, 3, 1
	v_xor_b32_e32 v25, v34, v25
	v_and_b32_e32 v35, v35, v21
	v_bfe_i32 v37, v18, 4, 1
	v_xor_b32_e32 v25, v25, v35
	v_and_b32_e32 v36, v36, v26
	;; [unrolled: 3-line block ×13, first 2 shown]
	v_bfe_i32 v56, v18, 16, 1
	v_and_b32_e32 v55, v55, v15
	v_xor_b32_e32 v25, v25, v54
	v_bfe_i32 v34, v18, 17, 1
	v_and_b32_e32 v56, v56, v16
	v_xor_b32_e32 v25, v25, v55
	;; [unrolled: 3-line block ×15, first 2 shown]
	v_add_u32_e32 v38, s6, v0
	v_and_b32_e32 v18, v18, v52
	v_xor_b32_e32 v25, v25, v49
	s_add_i32 s6, s6, s4
	v_cmp_le_u64_e32 vcc, s[8:9], v[38:39]
	v_xor_b32_e32 v18, v25, v18
	s_or_b64 s[2:3], vcc, s[2:3]
	v_xor_b32_e32 v22, v18, v22
	s_andn2_b64 exec, exec, s[2:3]
	s_cbranch_execnz .LBB1_2
; %bb.3:
	s_or_b64 exec, exec, s[2:3]
	global_load_dwordx4 v[18:21], v[50:51], off offset:4
	global_load_dwordx4 v[22:25], v[50:51], off offset:20
	;; [unrolled: 1-line block ×3, first 2 shown]
	global_load_dwordx3 v[30:32], v[50:51], off offset:52
	global_load_dwordx4 v[2:5], v[50:51], off offset:112
	global_load_dwordx4 v[6:9], v[50:51], off offset:96
	;; [unrolled: 1-line block ×4, first 2 shown]
	global_load_dwordx2 v[52:53], v[50:51], off offset:128
	s_waitcnt vmcnt(8)
	v_mov_b32_e32 v40, v19
	v_mov_b32_e32 v41, v20
	v_mov_b32_e32 v34, v21
	s_waitcnt vmcnt(7)
	v_mov_b32_e32 v35, v22
	v_mov_b32_e32 v36, v23
	v_mov_b32_e32 v37, v24
	v_mov_b32_e32 v42, v25
	s_waitcnt vmcnt(6)
	v_mov_b32_e32 v43, v26
	;; [unrolled: 5-line block ×3, first 2 shown]
	v_mov_b32_e32 v24, v31
	v_mov_b32_e32 v25, v32
.LBB1_4:
	s_or_b64 exec, exec, s[0:1]
	v_add_u32_e32 v39, s8, v18
	v_lshrrev_b32_e32 v0, 1, v39
	v_xor_b32_e32 v0, v0, v39
	v_bfe_i32 v1, v0, 0, 1
	v_bfe_i32 v18, v0, 1, 1
	v_and_b32_e32 v1, v1, v40
	v_and_b32_e32 v18, v18, v41
	v_bfe_i32 v19, v0, 2, 1
	v_and_b32_e32 v19, v19, v34
	v_bfe_i32 v20, v0, 3, 1
	v_xor_b32_e32 v1, v1, v18
	v_and_b32_e32 v20, v20, v35
	v_bfe_i32 v21, v0, 4, 1
	v_xor_b32_e32 v1, v1, v19
	;; [unrolled: 3-line block ×12, first 2 shown]
	s_waitcnt vmcnt(1)
	v_and_b32_e32 v46, v46, v14
	v_bfe_i32 v47, v0, 15, 1
	v_xor_b32_e32 v1, v1, v38
	v_and_b32_e32 v47, v47, v15
	v_bfe_i32 v48, v0, 16, 1
	v_xor_b32_e32 v1, v1, v46
	;; [unrolled: 3-line block ×16, first 2 shown]
	s_waitcnt vmcnt(0)
	v_and_b32_e32 v0, v0, v52
	v_ashrrev_i32_e32 v29, 31, v39
	v_xor_b32_e32 v1, v1, v28
	v_and_b32_e32 v29, v29, v53
	v_xor_b32_e32 v0, v1, v0
	v_xor_b32_e32 v38, v0, v29
	global_store_dwordx4 v[50:51], v[38:41], off
	global_store_dwordx4 v[50:51], v[34:37], off offset:16
	global_store_dwordx4 v[50:51], v[42:45], off offset:32
	global_store_dwordx4 v[50:51], v[22:25], off offset:48
	global_store_dwordx4 v[50:51], v[14:17], off offset:64
	global_store_dwordx4 v[50:51], v[10:13], off offset:80
	global_store_dwordx4 v[50:51], v[6:9], off offset:96
	global_store_dwordx4 v[50:51], v[2:5], off offset:112
	global_store_dwordx2 v[50:51], v[52:53], off offset:128
	s_endpgm
	.section	.rodata,"a",@progbits
	.p2align	6, 0x0
	.amdhsa_kernel _Z15generate_kernelIN14rocrand_device14sobol32_engineILb0EEEEvPT_Pjm
		.amdhsa_group_segment_fixed_size 0
		.amdhsa_private_segment_fixed_size 0
		.amdhsa_kernarg_size 280
		.amdhsa_user_sgpr_count 6
		.amdhsa_user_sgpr_private_segment_buffer 1
		.amdhsa_user_sgpr_dispatch_ptr 0
		.amdhsa_user_sgpr_queue_ptr 0
		.amdhsa_user_sgpr_kernarg_segment_ptr 1
		.amdhsa_user_sgpr_dispatch_id 0
		.amdhsa_user_sgpr_flat_scratch_init 0
		.amdhsa_user_sgpr_kernarg_preload_length 0
		.amdhsa_user_sgpr_kernarg_preload_offset 0
		.amdhsa_user_sgpr_private_segment_size 0
		.amdhsa_uses_dynamic_stack 0
		.amdhsa_system_sgpr_private_segment_wavefront_offset 0
		.amdhsa_system_sgpr_workgroup_id_x 1
		.amdhsa_system_sgpr_workgroup_id_y 1
		.amdhsa_system_sgpr_workgroup_id_z 0
		.amdhsa_system_sgpr_workgroup_info 0
		.amdhsa_system_vgpr_workitem_id 0
		.amdhsa_next_free_vgpr 59
		.amdhsa_next_free_sgpr 14
		.amdhsa_accum_offset 60
		.amdhsa_reserve_vcc 1
		.amdhsa_reserve_flat_scratch 0
		.amdhsa_float_round_mode_32 0
		.amdhsa_float_round_mode_16_64 0
		.amdhsa_float_denorm_mode_32 3
		.amdhsa_float_denorm_mode_16_64 3
		.amdhsa_dx10_clamp 1
		.amdhsa_ieee_mode 1
		.amdhsa_fp16_overflow 0
		.amdhsa_tg_split 0
		.amdhsa_exception_fp_ieee_invalid_op 0
		.amdhsa_exception_fp_denorm_src 0
		.amdhsa_exception_fp_ieee_div_zero 0
		.amdhsa_exception_fp_ieee_overflow 0
		.amdhsa_exception_fp_ieee_underflow 0
		.amdhsa_exception_fp_ieee_inexact 0
		.amdhsa_exception_int_div_zero 0
	.end_amdhsa_kernel
	.section	.text._Z15generate_kernelIN14rocrand_device14sobol32_engineILb0EEEEvPT_Pjm,"axG",@progbits,_Z15generate_kernelIN14rocrand_device14sobol32_engineILb0EEEEvPT_Pjm,comdat
.Lfunc_end1:
	.size	_Z15generate_kernelIN14rocrand_device14sobol32_engineILb0EEEEvPT_Pjm, .Lfunc_end1-_Z15generate_kernelIN14rocrand_device14sobol32_engineILb0EEEEvPT_Pjm
                                        ; -- End function
	.section	.AMDGPU.csdata,"",@progbits
; Kernel info:
; codeLenInByte = 1628
; NumSgprs: 18
; NumVgprs: 59
; NumAgprs: 0
; TotalNumVgprs: 59
; ScratchSize: 0
; MemoryBound: 1
; FloatMode: 240
; IeeeMode: 1
; LDSByteSize: 0 bytes/workgroup (compile time only)
; SGPRBlocks: 2
; VGPRBlocks: 7
; NumSGPRsForWavesPerEU: 18
; NumVGPRsForWavesPerEU: 59
; AccumOffset: 60
; Occupancy: 8
; WaveLimiterHint : 0
; COMPUTE_PGM_RSRC2:SCRATCH_EN: 0
; COMPUTE_PGM_RSRC2:USER_SGPR: 6
; COMPUTE_PGM_RSRC2:TRAP_HANDLER: 0
; COMPUTE_PGM_RSRC2:TGID_X_EN: 1
; COMPUTE_PGM_RSRC2:TGID_Y_EN: 1
; COMPUTE_PGM_RSRC2:TGID_Z_EN: 0
; COMPUTE_PGM_RSRC2:TIDIG_COMP_CNT: 0
; COMPUTE_PGM_RSRC3_GFX90A:ACCUM_OFFSET: 14
; COMPUTE_PGM_RSRC3_GFX90A:TG_SPLIT: 0
	.section	.text._Z27scrambled_sobol_init_kernelILj32EN14rocrand_device24scrambled_sobol32_engineILb0EEEEvPT0_PjS5_j,"axG",@progbits,_Z27scrambled_sobol_init_kernelILj32EN14rocrand_device24scrambled_sobol32_engineILb0EEEEvPT0_PjS5_j,comdat
	.protected	_Z27scrambled_sobol_init_kernelILj32EN14rocrand_device24scrambled_sobol32_engineILb0EEEEvPT0_PjS5_j ; -- Begin function _Z27scrambled_sobol_init_kernelILj32EN14rocrand_device24scrambled_sobol32_engineILb0EEEEvPT0_PjS5_j
	.globl	_Z27scrambled_sobol_init_kernelILj32EN14rocrand_device24scrambled_sobol32_engineILb0EEEEvPT0_PjS5_j
	.p2align	8
	.type	_Z27scrambled_sobol_init_kernelILj32EN14rocrand_device24scrambled_sobol32_engineILb0EEEEvPT0_PjS5_j,@function
_Z27scrambled_sobol_init_kernelILj32EN14rocrand_device24scrambled_sobol32_engineILb0EEEEvPT0_PjS5_j: ; @_Z27scrambled_sobol_init_kernelILj32EN14rocrand_device24scrambled_sobol32_engineILb0EEEEvPT0_PjS5_j
; %bb.0:
	s_mov_b32 s8, s7
	s_load_dwordx4 s[0:3], s[4:5], 0x0
	s_load_dword s7, s[4:5], 0x2c
	s_load_dword s12, s[4:5], 0x18
	;; [unrolled: 1-line block ×3, first 2 shown]
	s_load_dwordx2 s[10:11], s[4:5], 0x10
	s_waitcnt lgkmcnt(0)
	v_mov_b32_e32 v4, s0
	v_mov_b32_e32 v5, s1
	s_lshl_b32 s0, s8, 5
	s_mov_b32 s1, 0
	s_and_b32 s7, s7, 0xffff
	s_lshl_b64 s[4:5], s[0:1], 2
	s_add_u32 s2, s2, s4
	s_mov_b32 s9, s1
	s_mul_i32 s6, s6, s7
	s_addc_u32 s3, s3, s5
	s_lshl_b64 s[0:1], s[8:9], 2
	v_add_u32_e32 v0, s6, v0
	s_add_u32 s0, s10, s0
	s_load_dwordx16 s[16:31], s[2:3], 0x0
	s_addc_u32 s1, s11, s1
	v_add_u32_e32 v3, s12, v0
	s_load_dword s33, s[0:1], 0x0
	v_lshrrev_b32_e32 v1, 1, v3
	s_mul_i32 s0, s13, s8
	v_xor_b32_e32 v1, v1, v3
	s_mul_i32 s0, s0, s7
	v_bfe_i32 v2, v1, 0, 1
	v_bfe_i32 v6, v1, 1, 1
	v_add_u32_e32 v0, s0, v0
	s_movk_i32 s0, 0x8c
	v_bfe_i32 v7, v1, 2, 1
	v_bfe_i32 v8, v1, 3, 1
	;; [unrolled: 1-line block ×29, first 2 shown]
	v_mad_u64_u32 v[0:1], s[0:1], v0, s0, v[4:5]
	s_waitcnt lgkmcnt(0)
	v_and_b32_e32 v2, s16, v2
	v_and_b32_e32 v4, s17, v6
	v_xor_b32_e32 v2, v4, v2
	v_and_b32_e32 v4, s18, v7
	v_and_b32_e32 v5, s19, v8
	v_xor_b32_e32 v2, v2, v4
	v_xor_b32_e32 v2, v2, v5
	v_and_b32_e32 v4, s20, v9
	v_and_b32_e32 v5, s21, v10
	v_xor_b32_e32 v2, v2, v4
	;; [unrolled: 4-line block ×5, first 2 shown]
	s_load_dwordx16 s[0:15], s[2:3], 0x40
	v_xor_b32_e32 v2, v2, v5
	v_and_b32_e32 v4, s28, v17
	v_and_b32_e32 v5, s29, v18
	v_xor_b32_e32 v2, v2, v4
	v_xor_b32_e32 v2, v2, v5
	v_and_b32_e32 v4, s30, v19
	v_and_b32_e32 v5, s31, v20
	v_xor_b32_e32 v2, v2, v4
	v_xor_b32_e32 v2, v2, v5
	s_waitcnt lgkmcnt(0)
	v_and_b32_e32 v4, s0, v21
	v_and_b32_e32 v5, s1, v22
	v_xor_b32_e32 v2, v2, v4
	v_xor_b32_e32 v2, v2, v5
	v_and_b32_e32 v4, s2, v23
	v_and_b32_e32 v5, s3, v24
	v_xor_b32_e32 v2, v2, v4
	v_xor_b32_e32 v2, v2, v5
	;; [unrolled: 4-line block ×7, first 2 shown]
	v_and_b32_e32 v4, s14, v35
	v_ashrrev_i32_e32 v5, 31, v3
	v_and_b32_e32 v5, s15, v5
	v_xor_b32_e32 v2, v2, v4
	v_xor_b32_e32 v2, v2, v5
	v_mov_b32_e32 v4, s16
	v_mov_b32_e32 v5, s17
	global_store_dwordx4 v[0:1], v[2:5], off
	s_nop 0
	v_mov_b32_e32 v2, s18
	v_mov_b32_e32 v3, s19
	v_mov_b32_e32 v4, s20
	v_mov_b32_e32 v5, s21
	global_store_dwordx4 v[0:1], v[2:5], off offset:16
	s_nop 0
	v_mov_b32_e32 v2, s22
	v_mov_b32_e32 v3, s23
	v_mov_b32_e32 v4, s24
	v_mov_b32_e32 v5, s25
	global_store_dwordx4 v[0:1], v[2:5], off offset:32
	;; [unrolled: 6-line block ×7, first 2 shown]
	s_nop 0
	v_mov_b32_e32 v2, s14
	v_mov_b32_e32 v3, s15
	;; [unrolled: 1-line block ×3, first 2 shown]
	global_store_dwordx3 v[0:1], v[2:4], off offset:128
	s_endpgm
	.section	.rodata,"a",@progbits
	.p2align	6, 0x0
	.amdhsa_kernel _Z27scrambled_sobol_init_kernelILj32EN14rocrand_device24scrambled_sobol32_engineILb0EEEEvPT0_PjS5_j
		.amdhsa_group_segment_fixed_size 0
		.amdhsa_private_segment_fixed_size 0
		.amdhsa_kernarg_size 288
		.amdhsa_user_sgpr_count 6
		.amdhsa_user_sgpr_private_segment_buffer 1
		.amdhsa_user_sgpr_dispatch_ptr 0
		.amdhsa_user_sgpr_queue_ptr 0
		.amdhsa_user_sgpr_kernarg_segment_ptr 1
		.amdhsa_user_sgpr_dispatch_id 0
		.amdhsa_user_sgpr_flat_scratch_init 0
		.amdhsa_user_sgpr_kernarg_preload_length 0
		.amdhsa_user_sgpr_kernarg_preload_offset 0
		.amdhsa_user_sgpr_private_segment_size 0
		.amdhsa_uses_dynamic_stack 0
		.amdhsa_system_sgpr_private_segment_wavefront_offset 0
		.amdhsa_system_sgpr_workgroup_id_x 1
		.amdhsa_system_sgpr_workgroup_id_y 1
		.amdhsa_system_sgpr_workgroup_id_z 0
		.amdhsa_system_sgpr_workgroup_info 0
		.amdhsa_system_vgpr_workitem_id 0
		.amdhsa_next_free_vgpr 36
		.amdhsa_next_free_sgpr 34
		.amdhsa_accum_offset 36
		.amdhsa_reserve_vcc 0
		.amdhsa_reserve_flat_scratch 0
		.amdhsa_float_round_mode_32 0
		.amdhsa_float_round_mode_16_64 0
		.amdhsa_float_denorm_mode_32 3
		.amdhsa_float_denorm_mode_16_64 3
		.amdhsa_dx10_clamp 1
		.amdhsa_ieee_mode 1
		.amdhsa_fp16_overflow 0
		.amdhsa_tg_split 0
		.amdhsa_exception_fp_ieee_invalid_op 0
		.amdhsa_exception_fp_denorm_src 0
		.amdhsa_exception_fp_ieee_div_zero 0
		.amdhsa_exception_fp_ieee_overflow 0
		.amdhsa_exception_fp_ieee_underflow 0
		.amdhsa_exception_fp_ieee_inexact 0
		.amdhsa_exception_int_div_zero 0
	.end_amdhsa_kernel
	.section	.text._Z27scrambled_sobol_init_kernelILj32EN14rocrand_device24scrambled_sobol32_engineILb0EEEEvPT0_PjS5_j,"axG",@progbits,_Z27scrambled_sobol_init_kernelILj32EN14rocrand_device24scrambled_sobol32_engineILb0EEEEvPT0_PjS5_j,comdat
.Lfunc_end2:
	.size	_Z27scrambled_sobol_init_kernelILj32EN14rocrand_device24scrambled_sobol32_engineILb0EEEEvPT0_PjS5_j, .Lfunc_end2-_Z27scrambled_sobol_init_kernelILj32EN14rocrand_device24scrambled_sobol32_engineILb0EEEEvPT0_PjS5_j
                                        ; -- End function
	.section	.AMDGPU.csdata,"",@progbits
; Kernel info:
; codeLenInByte = 920
; NumSgprs: 38
; NumVgprs: 36
; NumAgprs: 0
; TotalNumVgprs: 36
; ScratchSize: 0
; MemoryBound: 0
; FloatMode: 240
; IeeeMode: 1
; LDSByteSize: 0 bytes/workgroup (compile time only)
; SGPRBlocks: 4
; VGPRBlocks: 4
; NumSGPRsForWavesPerEU: 38
; NumVGPRsForWavesPerEU: 36
; AccumOffset: 36
; Occupancy: 8
; WaveLimiterHint : 0
; COMPUTE_PGM_RSRC2:SCRATCH_EN: 0
; COMPUTE_PGM_RSRC2:USER_SGPR: 6
; COMPUTE_PGM_RSRC2:TRAP_HANDLER: 0
; COMPUTE_PGM_RSRC2:TGID_X_EN: 1
; COMPUTE_PGM_RSRC2:TGID_Y_EN: 1
; COMPUTE_PGM_RSRC2:TGID_Z_EN: 0
; COMPUTE_PGM_RSRC2:TIDIG_COMP_CNT: 0
; COMPUTE_PGM_RSRC3_GFX90A:ACCUM_OFFSET: 8
; COMPUTE_PGM_RSRC3_GFX90A:TG_SPLIT: 0
	.section	.text._Z15generate_kernelIN14rocrand_device24scrambled_sobol32_engineILb0EEEEvPT_Pjm,"axG",@progbits,_Z15generate_kernelIN14rocrand_device24scrambled_sobol32_engineILb0EEEEvPT_Pjm,comdat
	.protected	_Z15generate_kernelIN14rocrand_device24scrambled_sobol32_engineILb0EEEEvPT_Pjm ; -- Begin function _Z15generate_kernelIN14rocrand_device24scrambled_sobol32_engineILb0EEEEvPT_Pjm
	.globl	_Z15generate_kernelIN14rocrand_device24scrambled_sobol32_engineILb0EEEEvPT_Pjm
	.p2align	8
	.type	_Z15generate_kernelIN14rocrand_device24scrambled_sobol32_engineILb0EEEEvPT_Pjm,@function
_Z15generate_kernelIN14rocrand_device24scrambled_sobol32_engineILb0EEEEvPT_Pjm: ; @_Z15generate_kernelIN14rocrand_device24scrambled_sobol32_engineILb0EEEEvPT_Pjm
; %bb.0:
	s_load_dwordx4 s[0:3], s[4:5], 0x0
	s_load_dword s11, s[4:5], 0x24
	s_load_dword s10, s[4:5], 0x18
	s_load_dwordx2 s[8:9], s[4:5], 0x10
	v_mov_b32_e32 v39, 0
	s_waitcnt lgkmcnt(0)
	v_mov_b32_e32 v2, s0
	s_and_b32 s11, s11, 0xffff
	s_mul_i32 s0, s6, s11
	s_mul_i32 s4, s10, s11
	v_add_u32_e32 v38, s0, v0
	s_mul_i32 s0, s4, s7
	v_mov_b32_e32 v3, s1
	v_add_u32_e32 v1, s0, v38
	s_movk_i32 s0, 0x8c
	v_mad_u64_u32 v[54:55], s[0:1], v1, s0, v[2:3]
	global_load_dwordx4 v[18:21], v[54:55], off offset:4
	global_load_dwordx4 v[26:29], v[54:55], off offset:20
	;; [unrolled: 1-line block ×3, first 2 shown]
	global_load_dwordx3 v[50:52], v[54:55], off offset:52
	global_load_dwordx4 v[2:5], v[54:55], off offset:112
	global_load_dwordx4 v[6:9], v[54:55], off offset:96
	;; [unrolled: 1-line block ×4, first 2 shown]
	global_load_dwordx3 v[46:48], v[54:55], off offset:128
	v_cmp_gt_u64_e32 vcc, s[8:9], v[38:39]
	s_waitcnt vmcnt(8)
	v_mov_b32_e32 v40, v19
	v_mov_b32_e32 v41, v20
	v_mov_b32_e32 v34, v21
	s_waitcnt vmcnt(7)
	v_mov_b32_e32 v35, v26
	v_mov_b32_e32 v36, v27
	v_mov_b32_e32 v37, v28
	v_mov_b32_e32 v42, v29
	s_waitcnt vmcnt(6)
	v_mov_b32_e32 v43, v30
	;; [unrolled: 5-line block ×3, first 2 shown]
	v_mov_b32_e32 v24, v51
	v_mov_b32_e32 v25, v52
	s_and_saveexec_b64 s[0:1], vcc
	s_cbranch_execz .LBB3_4
; %bb.1:
	global_load_dword v22, v[54:55], off
	s_mul_i32 s5, s7, s9
	s_mul_hi_u32 s12, s7, s8
	s_add_i32 s13, s12, s5
	s_mul_i32 s12, s7, s8
	s_lshl_b64 s[12:13], s[12:13], 2
	s_add_u32 s5, s2, s12
	s_addc_u32 s7, s3, s13
	s_add_i32 s2, s6, s10
	s_mul_i32 s2, s2, s11
	v_add_u32_e32 v1, s4, v18
	v_add_u32_e32 v0, s2, v0
	s_mov_b32 s6, 0
	s_mov_b64 s[2:3], 0
	s_waitcnt vmcnt(0)
.LBB3_2:                                ; =>This Inner Loop Header: Depth=1
	v_lshlrev_b64 v[34:35], 2, v[38:39]
	v_xor_b32_e32 v18, v48, v22
	v_mov_b32_e32 v22, s7
	v_add_u32_e32 v25, s6, v1
	v_add_co_u32_e32 v34, vcc, s5, v34
	v_addc_co_u32_e32 v35, vcc, v22, v35, vcc
	v_lshrrev_b32_e32 v22, 1, v25
	global_store_dword v[34:35], v18, off
	v_xor_b32_e32 v18, v22, v25
	v_ashrrev_i32_e32 v36, 31, v25
	v_bfe_i32 v25, v18, 0, 1
	v_bfe_i32 v34, v18, 1, 1
	;; [unrolled: 1-line block ×3, first 2 shown]
	v_and_b32_e32 v25, v25, v19
	v_and_b32_e32 v34, v34, v20
	;; [unrolled: 1-line block ×3, first 2 shown]
	v_bfe_i32 v36, v18, 3, 1
	v_xor_b32_e32 v25, v34, v25
	v_and_b32_e32 v35, v35, v21
	v_bfe_i32 v37, v18, 4, 1
	v_xor_b32_e32 v25, v25, v35
	v_and_b32_e32 v36, v36, v26
	;; [unrolled: 3-line block ×14, first 2 shown]
	v_bfe_i32 v35, v18, 17, 1
	v_and_b32_e32 v34, v34, v16
	v_xor_b32_e32 v25, v25, v56
	v_bfe_i32 v36, v18, 18, 1
	v_and_b32_e32 v35, v35, v17
	v_xor_b32_e32 v25, v25, v34
	;; [unrolled: 3-line block ×14, first 2 shown]
	v_add_u32_e32 v38, s6, v0
	v_and_b32_e32 v18, v18, v46
	v_xor_b32_e32 v25, v25, v53
	s_add_i32 s6, s6, s4
	v_cmp_le_u64_e32 vcc, s[8:9], v[38:39]
	v_xor_b32_e32 v18, v25, v18
	s_or_b64 s[2:3], vcc, s[2:3]
	v_xor_b32_e32 v22, v18, v22
	s_andn2_b64 exec, exec, s[2:3]
	s_cbranch_execnz .LBB3_2
; %bb.3:
	s_or_b64 exec, exec, s[2:3]
	global_load_dwordx4 v[18:21], v[54:55], off offset:4
	global_load_dwordx4 v[22:25], v[54:55], off offset:20
	;; [unrolled: 1-line block ×3, first 2 shown]
	global_load_dwordx3 v[30:32], v[54:55], off offset:52
	global_load_dwordx4 v[2:5], v[54:55], off offset:112
	global_load_dwordx4 v[6:9], v[54:55], off offset:96
	;; [unrolled: 1-line block ×4, first 2 shown]
	global_load_dwordx3 v[46:48], v[54:55], off offset:128
	s_waitcnt vmcnt(8)
	v_mov_b32_e32 v40, v19
	v_mov_b32_e32 v41, v20
	v_mov_b32_e32 v34, v21
	s_waitcnt vmcnt(7)
	v_mov_b32_e32 v35, v22
	v_mov_b32_e32 v36, v23
	v_mov_b32_e32 v37, v24
	v_mov_b32_e32 v42, v25
	s_waitcnt vmcnt(6)
	v_mov_b32_e32 v43, v26
	v_mov_b32_e32 v44, v27
	v_mov_b32_e32 v45, v28
	v_mov_b32_e32 v22, v29
	s_waitcnt vmcnt(5)
	v_mov_b32_e32 v23, v30
	v_mov_b32_e32 v24, v31
	v_mov_b32_e32 v25, v32
.LBB3_4:
	s_or_b64 exec, exec, s[0:1]
	v_add_u32_e32 v39, s8, v18
	v_lshrrev_b32_e32 v0, 1, v39
	v_xor_b32_e32 v0, v0, v39
	v_bfe_i32 v1, v0, 0, 1
	v_bfe_i32 v18, v0, 1, 1
	v_and_b32_e32 v1, v1, v40
	v_and_b32_e32 v18, v18, v41
	v_bfe_i32 v19, v0, 2, 1
	v_and_b32_e32 v19, v19, v34
	v_bfe_i32 v20, v0, 3, 1
	v_xor_b32_e32 v1, v1, v18
	v_and_b32_e32 v20, v20, v35
	v_bfe_i32 v21, v0, 4, 1
	v_xor_b32_e32 v1, v1, v19
	;; [unrolled: 3-line block ×12, first 2 shown]
	s_waitcnt vmcnt(1)
	v_and_b32_e32 v49, v49, v14
	v_bfe_i32 v50, v0, 15, 1
	v_xor_b32_e32 v1, v1, v38
	v_and_b32_e32 v50, v50, v15
	v_bfe_i32 v51, v0, 16, 1
	v_xor_b32_e32 v1, v1, v49
	;; [unrolled: 3-line block ×16, first 2 shown]
	s_waitcnt vmcnt(0)
	v_and_b32_e32 v0, v0, v46
	v_ashrrev_i32_e32 v30, 31, v39
	v_xor_b32_e32 v1, v1, v29
	v_and_b32_e32 v30, v30, v47
	v_xor_b32_e32 v0, v1, v0
	v_xor_b32_e32 v38, v0, v30
	global_store_dwordx4 v[54:55], v[38:41], off
	global_store_dwordx4 v[54:55], v[34:37], off offset:16
	global_store_dwordx4 v[54:55], v[42:45], off offset:32
	;; [unrolled: 1-line block ×7, first 2 shown]
	global_store_dwordx3 v[54:55], v[46:48], off offset:128
	s_endpgm
	.section	.rodata,"a",@progbits
	.p2align	6, 0x0
	.amdhsa_kernel _Z15generate_kernelIN14rocrand_device24scrambled_sobol32_engineILb0EEEEvPT_Pjm
		.amdhsa_group_segment_fixed_size 0
		.amdhsa_private_segment_fixed_size 0
		.amdhsa_kernarg_size 280
		.amdhsa_user_sgpr_count 6
		.amdhsa_user_sgpr_private_segment_buffer 1
		.amdhsa_user_sgpr_dispatch_ptr 0
		.amdhsa_user_sgpr_queue_ptr 0
		.amdhsa_user_sgpr_kernarg_segment_ptr 1
		.amdhsa_user_sgpr_dispatch_id 0
		.amdhsa_user_sgpr_flat_scratch_init 0
		.amdhsa_user_sgpr_kernarg_preload_length 0
		.amdhsa_user_sgpr_kernarg_preload_offset 0
		.amdhsa_user_sgpr_private_segment_size 0
		.amdhsa_uses_dynamic_stack 0
		.amdhsa_system_sgpr_private_segment_wavefront_offset 0
		.amdhsa_system_sgpr_workgroup_id_x 1
		.amdhsa_system_sgpr_workgroup_id_y 1
		.amdhsa_system_sgpr_workgroup_id_z 0
		.amdhsa_system_sgpr_workgroup_info 0
		.amdhsa_system_vgpr_workitem_id 0
		.amdhsa_next_free_vgpr 59
		.amdhsa_next_free_sgpr 14
		.amdhsa_accum_offset 60
		.amdhsa_reserve_vcc 1
		.amdhsa_reserve_flat_scratch 0
		.amdhsa_float_round_mode_32 0
		.amdhsa_float_round_mode_16_64 0
		.amdhsa_float_denorm_mode_32 3
		.amdhsa_float_denorm_mode_16_64 3
		.amdhsa_dx10_clamp 1
		.amdhsa_ieee_mode 1
		.amdhsa_fp16_overflow 0
		.amdhsa_tg_split 0
		.amdhsa_exception_fp_ieee_invalid_op 0
		.amdhsa_exception_fp_denorm_src 0
		.amdhsa_exception_fp_ieee_div_zero 0
		.amdhsa_exception_fp_ieee_overflow 0
		.amdhsa_exception_fp_ieee_underflow 0
		.amdhsa_exception_fp_ieee_inexact 0
		.amdhsa_exception_int_div_zero 0
	.end_amdhsa_kernel
	.section	.text._Z15generate_kernelIN14rocrand_device24scrambled_sobol32_engineILb0EEEEvPT_Pjm,"axG",@progbits,_Z15generate_kernelIN14rocrand_device24scrambled_sobol32_engineILb0EEEEvPT_Pjm,comdat
.Lfunc_end3:
	.size	_Z15generate_kernelIN14rocrand_device24scrambled_sobol32_engineILb0EEEEvPT_Pjm, .Lfunc_end3-_Z15generate_kernelIN14rocrand_device24scrambled_sobol32_engineILb0EEEEvPT_Pjm
                                        ; -- End function
	.section	.AMDGPU.csdata,"",@progbits
; Kernel info:
; codeLenInByte = 1632
; NumSgprs: 18
; NumVgprs: 59
; NumAgprs: 0
; TotalNumVgprs: 59
; ScratchSize: 0
; MemoryBound: 1
; FloatMode: 240
; IeeeMode: 1
; LDSByteSize: 0 bytes/workgroup (compile time only)
; SGPRBlocks: 2
; VGPRBlocks: 7
; NumSGPRsForWavesPerEU: 18
; NumVGPRsForWavesPerEU: 59
; AccumOffset: 60
; Occupancy: 8
; WaveLimiterHint : 0
; COMPUTE_PGM_RSRC2:SCRATCH_EN: 0
; COMPUTE_PGM_RSRC2:USER_SGPR: 6
; COMPUTE_PGM_RSRC2:TRAP_HANDLER: 0
; COMPUTE_PGM_RSRC2:TGID_X_EN: 1
; COMPUTE_PGM_RSRC2:TGID_Y_EN: 1
; COMPUTE_PGM_RSRC2:TGID_Z_EN: 0
; COMPUTE_PGM_RSRC2:TIDIG_COMP_CNT: 0
; COMPUTE_PGM_RSRC3_GFX90A:ACCUM_OFFSET: 14
; COMPUTE_PGM_RSRC3_GFX90A:TG_SPLIT: 0
	.text
	.p2alignl 6, 3212836864
	.fill 256, 4, 3212836864
	.type	__hip_cuid_1d9eeaf0acc18e9f,@object ; @__hip_cuid_1d9eeaf0acc18e9f
	.section	.bss,"aw",@nobits
	.globl	__hip_cuid_1d9eeaf0acc18e9f
__hip_cuid_1d9eeaf0acc18e9f:
	.byte	0                               ; 0x0
	.size	__hip_cuid_1d9eeaf0acc18e9f, 1

	.ident	"AMD clang version 19.0.0git (https://github.com/RadeonOpenCompute/llvm-project roc-6.4.0 25133 c7fe45cf4b819c5991fe208aaa96edf142730f1d)"
	.section	".note.GNU-stack","",@progbits
	.addrsig
	.addrsig_sym __hip_cuid_1d9eeaf0acc18e9f
	.amdgpu_metadata
---
amdhsa.kernels:
  - .agpr_count:     0
    .args:
      - .address_space:  global
        .offset:         0
        .size:           8
        .value_kind:     global_buffer
      - .address_space:  global
        .offset:         8
        .size:           8
        .value_kind:     global_buffer
      - .offset:         16
        .size:           4
        .value_kind:     by_value
      - .offset:         24
        .size:           4
        .value_kind:     hidden_block_count_x
      - .offset:         28
        .size:           4
        .value_kind:     hidden_block_count_y
      - .offset:         32
        .size:           4
        .value_kind:     hidden_block_count_z
      - .offset:         36
        .size:           2
        .value_kind:     hidden_group_size_x
      - .offset:         38
        .size:           2
        .value_kind:     hidden_group_size_y
      - .offset:         40
        .size:           2
        .value_kind:     hidden_group_size_z
      - .offset:         42
        .size:           2
        .value_kind:     hidden_remainder_x
      - .offset:         44
        .size:           2
        .value_kind:     hidden_remainder_y
      - .offset:         46
        .size:           2
        .value_kind:     hidden_remainder_z
      - .offset:         64
        .size:           8
        .value_kind:     hidden_global_offset_x
      - .offset:         72
        .size:           8
        .value_kind:     hidden_global_offset_y
      - .offset:         80
        .size:           8
        .value_kind:     hidden_global_offset_z
      - .offset:         88
        .size:           2
        .value_kind:     hidden_grid_dims
    .group_segment_fixed_size: 0
    .kernarg_segment_align: 8
    .kernarg_segment_size: 280
    .language:       OpenCL C
    .language_version:
      - 2
      - 0
    .max_flat_workgroup_size: 1024
    .name:           _Z17sobol_init_kernelILj32EN14rocrand_device14sobol32_engineILb0EEEEvPT0_Pjj
    .private_segment_fixed_size: 0
    .sgpr_count:     36
    .sgpr_spill_count: 0
    .symbol:         _Z17sobol_init_kernelILj32EN14rocrand_device14sobol32_engineILb0EEEEvPT0_Pjj.kd
    .uniform_work_group_size: 1
    .uses_dynamic_stack: false
    .vgpr_count:     36
    .vgpr_spill_count: 0
    .wavefront_size: 64
  - .agpr_count:     0
    .args:
      - .address_space:  global
        .offset:         0
        .size:           8
        .value_kind:     global_buffer
      - .address_space:  global
        .offset:         8
        .size:           8
        .value_kind:     global_buffer
      - .offset:         16
        .size:           8
        .value_kind:     by_value
      - .offset:         24
        .size:           4
        .value_kind:     hidden_block_count_x
      - .offset:         28
        .size:           4
        .value_kind:     hidden_block_count_y
      - .offset:         32
        .size:           4
        .value_kind:     hidden_block_count_z
      - .offset:         36
        .size:           2
        .value_kind:     hidden_group_size_x
      - .offset:         38
        .size:           2
        .value_kind:     hidden_group_size_y
      - .offset:         40
        .size:           2
        .value_kind:     hidden_group_size_z
      - .offset:         42
        .size:           2
        .value_kind:     hidden_remainder_x
      - .offset:         44
        .size:           2
        .value_kind:     hidden_remainder_y
      - .offset:         46
        .size:           2
        .value_kind:     hidden_remainder_z
      - .offset:         64
        .size:           8
        .value_kind:     hidden_global_offset_x
      - .offset:         72
        .size:           8
        .value_kind:     hidden_global_offset_y
      - .offset:         80
        .size:           8
        .value_kind:     hidden_global_offset_z
      - .offset:         88
        .size:           2
        .value_kind:     hidden_grid_dims
    .group_segment_fixed_size: 0
    .kernarg_segment_align: 8
    .kernarg_segment_size: 280
    .language:       OpenCL C
    .language_version:
      - 2
      - 0
    .max_flat_workgroup_size: 1024
    .name:           _Z15generate_kernelIN14rocrand_device14sobol32_engineILb0EEEEvPT_Pjm
    .private_segment_fixed_size: 0
    .sgpr_count:     18
    .sgpr_spill_count: 0
    .symbol:         _Z15generate_kernelIN14rocrand_device14sobol32_engineILb0EEEEvPT_Pjm.kd
    .uniform_work_group_size: 1
    .uses_dynamic_stack: false
    .vgpr_count:     59
    .vgpr_spill_count: 0
    .wavefront_size: 64
  - .agpr_count:     0
    .args:
      - .address_space:  global
        .offset:         0
        .size:           8
        .value_kind:     global_buffer
      - .address_space:  global
        .offset:         8
        .size:           8
        .value_kind:     global_buffer
      - .address_space:  global
        .offset:         16
        .size:           8
        .value_kind:     global_buffer
      - .offset:         24
        .size:           4
        .value_kind:     by_value
      - .offset:         32
        .size:           4
        .value_kind:     hidden_block_count_x
      - .offset:         36
        .size:           4
        .value_kind:     hidden_block_count_y
      - .offset:         40
        .size:           4
        .value_kind:     hidden_block_count_z
      - .offset:         44
        .size:           2
        .value_kind:     hidden_group_size_x
      - .offset:         46
        .size:           2
        .value_kind:     hidden_group_size_y
      - .offset:         48
        .size:           2
        .value_kind:     hidden_group_size_z
      - .offset:         50
        .size:           2
        .value_kind:     hidden_remainder_x
      - .offset:         52
        .size:           2
        .value_kind:     hidden_remainder_y
      - .offset:         54
        .size:           2
        .value_kind:     hidden_remainder_z
      - .offset:         72
        .size:           8
        .value_kind:     hidden_global_offset_x
      - .offset:         80
        .size:           8
        .value_kind:     hidden_global_offset_y
      - .offset:         88
        .size:           8
        .value_kind:     hidden_global_offset_z
      - .offset:         96
        .size:           2
        .value_kind:     hidden_grid_dims
    .group_segment_fixed_size: 0
    .kernarg_segment_align: 8
    .kernarg_segment_size: 288
    .language:       OpenCL C
    .language_version:
      - 2
      - 0
    .max_flat_workgroup_size: 1024
    .name:           _Z27scrambled_sobol_init_kernelILj32EN14rocrand_device24scrambled_sobol32_engineILb0EEEEvPT0_PjS5_j
    .private_segment_fixed_size: 0
    .sgpr_count:     38
    .sgpr_spill_count: 0
    .symbol:         _Z27scrambled_sobol_init_kernelILj32EN14rocrand_device24scrambled_sobol32_engineILb0EEEEvPT0_PjS5_j.kd
    .uniform_work_group_size: 1
    .uses_dynamic_stack: false
    .vgpr_count:     36
    .vgpr_spill_count: 0
    .wavefront_size: 64
  - .agpr_count:     0
    .args:
      - .address_space:  global
        .offset:         0
        .size:           8
        .value_kind:     global_buffer
      - .address_space:  global
        .offset:         8
        .size:           8
        .value_kind:     global_buffer
      - .offset:         16
        .size:           8
        .value_kind:     by_value
      - .offset:         24
        .size:           4
        .value_kind:     hidden_block_count_x
      - .offset:         28
        .size:           4
        .value_kind:     hidden_block_count_y
      - .offset:         32
        .size:           4
        .value_kind:     hidden_block_count_z
      - .offset:         36
        .size:           2
        .value_kind:     hidden_group_size_x
      - .offset:         38
        .size:           2
        .value_kind:     hidden_group_size_y
      - .offset:         40
        .size:           2
        .value_kind:     hidden_group_size_z
      - .offset:         42
        .size:           2
        .value_kind:     hidden_remainder_x
      - .offset:         44
        .size:           2
        .value_kind:     hidden_remainder_y
      - .offset:         46
        .size:           2
        .value_kind:     hidden_remainder_z
      - .offset:         64
        .size:           8
        .value_kind:     hidden_global_offset_x
      - .offset:         72
        .size:           8
        .value_kind:     hidden_global_offset_y
      - .offset:         80
        .size:           8
        .value_kind:     hidden_global_offset_z
      - .offset:         88
        .size:           2
        .value_kind:     hidden_grid_dims
    .group_segment_fixed_size: 0
    .kernarg_segment_align: 8
    .kernarg_segment_size: 280
    .language:       OpenCL C
    .language_version:
      - 2
      - 0
    .max_flat_workgroup_size: 1024
    .name:           _Z15generate_kernelIN14rocrand_device24scrambled_sobol32_engineILb0EEEEvPT_Pjm
    .private_segment_fixed_size: 0
    .sgpr_count:     18
    .sgpr_spill_count: 0
    .symbol:         _Z15generate_kernelIN14rocrand_device24scrambled_sobol32_engineILb0EEEEvPT_Pjm.kd
    .uniform_work_group_size: 1
    .uses_dynamic_stack: false
    .vgpr_count:     59
    .vgpr_spill_count: 0
    .wavefront_size: 64
amdhsa.target:   amdgcn-amd-amdhsa--gfx90a
amdhsa.version:
  - 1
  - 2
...

	.end_amdgpu_metadata
